;; amdgpu-corpus repo=ROCm/rocFFT kind=compiled arch=gfx950 opt=O3
	.text
	.amdgcn_target "amdgcn-amd-amdhsa--gfx950"
	.amdhsa_code_object_version 6
	.protected	fft_rtc_back_len196_factors_4_7_7_wgs_56_tpt_28_sp_ip_CI_unitstride_sbrr_dirReg ; -- Begin function fft_rtc_back_len196_factors_4_7_7_wgs_56_tpt_28_sp_ip_CI_unitstride_sbrr_dirReg
	.globl	fft_rtc_back_len196_factors_4_7_7_wgs_56_tpt_28_sp_ip_CI_unitstride_sbrr_dirReg
	.p2align	8
	.type	fft_rtc_back_len196_factors_4_7_7_wgs_56_tpt_28_sp_ip_CI_unitstride_sbrr_dirReg,@function
fft_rtc_back_len196_factors_4_7_7_wgs_56_tpt_28_sp_ip_CI_unitstride_sbrr_dirReg: ; @fft_rtc_back_len196_factors_4_7_7_wgs_56_tpt_28_sp_ip_CI_unitstride_sbrr_dirReg
; %bb.0:
	s_load_dwordx2 s[8:9], s[0:1], 0x50
	s_load_dwordx4 s[4:7], s[0:1], 0x0
	s_load_dwordx2 s[10:11], s[0:1], 0x18
	v_mul_u32_u24_e32 v1, 0x925, v0
	v_lshrrev_b32_e32 v1, 16, v1
	v_lshl_add_u32 v6, s2, 1, v1
	v_mov_b32_e32 v4, 0
	s_waitcnt lgkmcnt(0)
	v_cmp_lt_u64_e64 s[2:3], s[6:7], 2
	v_mov_b32_e32 v7, v4
	s_and_b64 vcc, exec, s[2:3]
	v_mov_b64_e32 v[2:3], 0
	s_cbranch_vccnz .LBB0_8
; %bb.1:
	s_load_dwordx2 s[2:3], s[0:1], 0x10
	s_add_u32 s12, s10, 8
	s_addc_u32 s13, s11, 0
	s_mov_b64 s[14:15], 1
	v_mov_b64_e32 v[2:3], 0
	s_waitcnt lgkmcnt(0)
	s_add_u32 s16, s2, 8
	s_addc_u32 s17, s3, 0
.LBB0_2:                                ; =>This Inner Loop Header: Depth=1
	s_load_dwordx2 s[18:19], s[16:17], 0x0
                                        ; implicit-def: $vgpr8_vgpr9
	s_waitcnt lgkmcnt(0)
	v_or_b32_e32 v5, s19, v7
	v_cmp_ne_u64_e32 vcc, 0, v[4:5]
	s_and_saveexec_b64 s[2:3], vcc
	s_xor_b64 s[20:21], exec, s[2:3]
	s_cbranch_execz .LBB0_4
; %bb.3:                                ;   in Loop: Header=BB0_2 Depth=1
	v_cvt_f32_u32_e32 v5, s18
	v_cvt_f32_u32_e32 v8, s19
	s_sub_u32 s2, 0, s18
	s_subb_u32 s3, 0, s19
	v_fmac_f32_e32 v5, 0x4f800000, v8
	v_rcp_f32_e32 v5, v5
	s_nop 0
	v_mul_f32_e32 v5, 0x5f7ffffc, v5
	v_mul_f32_e32 v8, 0x2f800000, v5
	v_trunc_f32_e32 v8, v8
	v_fmac_f32_e32 v5, 0xcf800000, v8
	v_cvt_u32_f32_e32 v12, v8
	v_cvt_u32_f32_e32 v5, v5
	v_mul_lo_u32 v8, s2, v12
	v_mul_hi_u32 v10, s2, v5
	v_mul_lo_u32 v9, s3, v5
	v_add_u32_e32 v10, v10, v8
	v_mul_lo_u32 v13, s2, v5
	v_add_u32_e32 v14, v10, v9
	v_mul_hi_u32 v8, v5, v13
	v_mul_hi_u32 v11, v5, v14
	v_mul_lo_u32 v10, v5, v14
	v_mov_b32_e32 v9, v4
	v_lshl_add_u64 v[8:9], v[8:9], 0, v[10:11]
	v_mul_hi_u32 v11, v12, v13
	v_mul_lo_u32 v13, v12, v13
	v_add_co_u32_e32 v8, vcc, v8, v13
	v_mul_hi_u32 v10, v12, v14
	s_nop 0
	v_addc_co_u32_e32 v8, vcc, v9, v11, vcc
	v_mov_b32_e32 v9, v4
	s_nop 0
	v_addc_co_u32_e32 v11, vcc, 0, v10, vcc
	v_mul_lo_u32 v10, v12, v14
	v_lshl_add_u64 v[8:9], v[8:9], 0, v[10:11]
	v_add_co_u32_e32 v5, vcc, v5, v8
	v_mul_lo_u32 v10, s2, v5
	s_nop 0
	v_addc_co_u32_e32 v12, vcc, v12, v9, vcc
	v_mul_lo_u32 v8, s2, v12
	v_mul_hi_u32 v9, s2, v5
	v_add_u32_e32 v8, v9, v8
	v_mul_lo_u32 v9, s3, v5
	v_add_u32_e32 v13, v8, v9
	v_mul_hi_u32 v15, v12, v10
	v_mul_lo_u32 v16, v12, v10
	v_mul_hi_u32 v9, v5, v13
	v_mul_lo_u32 v8, v5, v13
	v_mul_hi_u32 v10, v5, v10
	v_mov_b32_e32 v11, v4
	v_lshl_add_u64 v[8:9], v[10:11], 0, v[8:9]
	v_add_co_u32_e32 v8, vcc, v8, v16
	v_mul_hi_u32 v14, v12, v13
	s_nop 0
	v_addc_co_u32_e32 v8, vcc, v9, v15, vcc
	v_mul_lo_u32 v10, v12, v13
	s_nop 0
	v_addc_co_u32_e32 v11, vcc, 0, v14, vcc
	v_mov_b32_e32 v9, v4
	v_lshl_add_u64 v[8:9], v[8:9], 0, v[10:11]
	v_add_co_u32_e32 v5, vcc, v5, v8
	v_mul_hi_u32 v10, v6, v5
	s_nop 0
	v_addc_co_u32_e32 v12, vcc, v12, v9, vcc
	v_mad_u64_u32 v[8:9], s[2:3], v6, v12, 0
	v_mov_b32_e32 v11, v4
	v_lshl_add_u64 v[8:9], v[10:11], 0, v[8:9]
	v_mad_u64_u32 v[10:11], s[2:3], v7, v12, 0
	v_mad_u64_u32 v[12:13], s[2:3], v7, v5, 0
	v_add_co_u32_e32 v5, vcc, v8, v12
	s_nop 1
	v_addc_co_u32_e32 v8, vcc, v9, v13, vcc
	v_mov_b32_e32 v9, v4
	s_nop 0
	v_addc_co_u32_e32 v11, vcc, 0, v11, vcc
	v_lshl_add_u64 v[8:9], v[8:9], 0, v[10:11]
	v_mul_lo_u32 v5, s19, v8
	v_mul_lo_u32 v12, s18, v9
	v_mad_u64_u32 v[10:11], s[2:3], s18, v8, 0
	v_add3_u32 v5, v11, v12, v5
	v_sub_u32_e32 v11, v7, v5
	v_mov_b32_e32 v12, s19
	v_sub_co_u32_e32 v14, vcc, v6, v10
	s_nop 1
	v_subb_co_u32_e64 v10, s[2:3], v11, v12, vcc
	v_subrev_co_u32_e64 v11, s[2:3], s18, v14
	v_subb_co_u32_e32 v5, vcc, v7, v5, vcc
	s_nop 0
	v_subbrev_co_u32_e64 v10, s[2:3], 0, v10, s[2:3]
	v_cmp_le_u32_e64 s[2:3], s19, v10
	v_cmp_le_u32_e32 vcc, s19, v5
	s_nop 0
	v_cndmask_b32_e64 v12, 0, -1, s[2:3]
	v_cmp_le_u32_e64 s[2:3], s18, v11
	s_nop 1
	v_cndmask_b32_e64 v11, 0, -1, s[2:3]
	v_cmp_eq_u32_e64 s[2:3], s19, v10
	s_nop 1
	v_cndmask_b32_e64 v15, v12, v11, s[2:3]
	v_lshl_add_u64 v[10:11], v[8:9], 0, 2
	v_lshl_add_u64 v[12:13], v[8:9], 0, 1
	v_cmp_ne_u32_e64 s[2:3], 0, v15
	s_nop 1
	v_cndmask_b32_e64 v11, v13, v11, s[2:3]
	v_cndmask_b32_e64 v13, 0, -1, vcc
	v_cmp_le_u32_e32 vcc, s18, v14
	s_nop 1
	v_cndmask_b32_e64 v14, 0, -1, vcc
	v_cmp_eq_u32_e32 vcc, s19, v5
	s_nop 1
	v_cndmask_b32_e32 v5, v13, v14, vcc
	v_cmp_ne_u32_e32 vcc, 0, v5
	v_cndmask_b32_e64 v5, v12, v10, s[2:3]
	s_nop 0
	v_cndmask_b32_e32 v9, v9, v11, vcc
	v_cndmask_b32_e32 v8, v8, v5, vcc
.LBB0_4:                                ;   in Loop: Header=BB0_2 Depth=1
	s_andn2_saveexec_b64 s[2:3], s[20:21]
	s_cbranch_execz .LBB0_6
; %bb.5:                                ;   in Loop: Header=BB0_2 Depth=1
	v_cvt_f32_u32_e32 v5, s18
	s_sub_i32 s20, 0, s18
	v_rcp_iflag_f32_e32 v5, v5
	s_nop 0
	v_mul_f32_e32 v5, 0x4f7ffffe, v5
	v_cvt_u32_f32_e32 v5, v5
	v_mul_lo_u32 v8, s20, v5
	v_mul_hi_u32 v8, v5, v8
	v_add_u32_e32 v5, v5, v8
	v_mul_hi_u32 v5, v6, v5
	v_mul_lo_u32 v8, v5, s18
	v_sub_u32_e32 v8, v6, v8
	v_add_u32_e32 v9, 1, v5
	v_subrev_u32_e32 v10, s18, v8
	v_cmp_le_u32_e32 vcc, s18, v8
	s_nop 1
	v_cndmask_b32_e32 v8, v8, v10, vcc
	v_cndmask_b32_e32 v5, v5, v9, vcc
	v_add_u32_e32 v9, 1, v5
	v_cmp_le_u32_e32 vcc, s18, v8
	s_nop 1
	v_cndmask_b32_e32 v8, v5, v9, vcc
	v_mov_b32_e32 v9, v4
.LBB0_6:                                ;   in Loop: Header=BB0_2 Depth=1
	s_or_b64 exec, exec, s[2:3]
	v_mad_u64_u32 v[10:11], s[2:3], v8, s18, 0
	s_load_dwordx2 s[2:3], s[12:13], 0x0
	v_mul_lo_u32 v5, v9, s18
	v_mul_lo_u32 v12, v8, s19
	v_add3_u32 v5, v11, v12, v5
	v_sub_co_u32_e32 v6, vcc, v6, v10
	s_add_u32 s14, s14, 1
	s_nop 0
	v_subb_co_u32_e32 v5, vcc, v7, v5, vcc
	s_addc_u32 s15, s15, 0
	s_waitcnt lgkmcnt(0)
	v_mul_lo_u32 v5, s2, v5
	v_mul_lo_u32 v7, s3, v6
	v_mad_u64_u32 v[2:3], s[2:3], s2, v6, v[2:3]
	s_add_u32 s12, s12, 8
	v_add3_u32 v3, v7, v3, v5
	s_addc_u32 s13, s13, 0
	v_mov_b64_e32 v[6:7], s[6:7]
	s_add_u32 s16, s16, 8
	v_cmp_ge_u64_e32 vcc, s[14:15], v[6:7]
	s_addc_u32 s17, s17, 0
	s_cbranch_vccnz .LBB0_9
; %bb.7:                                ;   in Loop: Header=BB0_2 Depth=1
	v_mov_b64_e32 v[6:7], v[8:9]
	s_branch .LBB0_2
.LBB0_8:
	v_mov_b64_e32 v[8:9], v[6:7]
.LBB0_9:
	s_lshl_b64 s[2:3], s[6:7], 3
	s_add_u32 s2, s10, s2
	s_addc_u32 s3, s11, s3
	s_load_dwordx2 s[6:7], s[2:3], 0x0
	s_load_dwordx2 s[10:11], s[0:1], 0x20
	v_and_b32_e32 v1, 1, v1
	s_waitcnt lgkmcnt(0)
	v_mul_lo_u32 v4, s6, v9
	v_mul_lo_u32 v5, s7, v8
	v_mad_u64_u32 v[2:3], s[0:1], s6, v8, v[2:3]
	s_mov_b32 s6, 0x924924a
	v_add3_u32 v3, v5, v3, v4
	v_mul_hi_u32 v4, v0, s6
	v_mul_u32_u24_e32 v4, 28, v4
	v_sub_u32_e32 v12, v0, v4
	v_cmp_eq_u32_e64 s[0:1], 1, v1
	v_mov_b32_e32 v1, 0xc4
	v_cmp_gt_u64_e32 vcc, s[10:11], v[8:9]
	v_cmp_le_u64_e64 s[2:3], s[10:11], v[8:9]
	v_add_u32_e32 v20, 28, v12
	s_and_saveexec_b64 s[6:7], s[2:3]
	s_xor_b64 s[2:3], exec, s[6:7]
; %bb.10:
	v_add_u32_e32 v20, 28, v12
; %bb.11:
	s_or_saveexec_b64 s[2:3], s[2:3]
	v_cndmask_b32_e64 v0, 0, v1, s[0:1]
	v_lshl_add_u64 v[14:15], v[2:3], 3, s[8:9]
	v_lshlrev_b32_e32 v19, 3, v0
	v_lshlrev_b32_e32 v0, 3, v12
	s_xor_b64 exec, exec, s[2:3]
	s_cbranch_execz .LBB0_13
; %bb.12:
	v_mov_b32_e32 v13, 0
	v_lshl_add_u64 v[2:3], v[12:13], 3, v[14:15]
	global_load_dwordx2 v[4:5], v[2:3], off
	global_load_dwordx2 v[6:7], v[2:3], off offset:224
	global_load_dwordx2 v[8:9], v[2:3], off offset:448
	;; [unrolled: 1-line block ×6, first 2 shown]
	v_add3_u32 v1, 0, v19, v0
	s_waitcnt vmcnt(5)
	ds_write2_b64 v1, v[4:5], v[6:7] offset1:28
	s_waitcnt vmcnt(3)
	ds_write2_b64 v1, v[8:9], v[10:11] offset0:56 offset1:84
	s_waitcnt vmcnt(1)
	ds_write2_b64 v1, v[16:17], v[22:23] offset0:112 offset1:140
	s_waitcnt vmcnt(0)
	ds_write_b64 v1, v[24:25] offset:1344
.LBB0_13:
	s_or_b64 exec, exec, s[2:3]
	v_add3_u32 v13, 0, v0, v19
	s_waitcnt lgkmcnt(0)
	; wave barrier
	s_waitcnt lgkmcnt(0)
	v_add3_u32 v18, 0, v19, v0
	ds_read2_b64 v[0:3], v13 offset0:77 offset1:98
	ds_read_b64 v[22:23], v18
	ds_read2_b64 v[4:7], v13 offset0:28 offset1:49
	ds_read2_b64 v[8:11], v13 offset0:126 offset1:147
	ds_read_b64 v[16:17], v13 offset:1400
	v_mad_u32_u24 v21, v12, 24, v13
	s_waitcnt lgkmcnt(3)
	v_pk_add_f32 v[2:3], v[22:23], v[2:3] neg_lo:[0,1] neg_hi:[0,1]
	v_cmp_gt_u32_e64 s[0:1], 21, v12
	s_waitcnt lgkmcnt(1)
	v_pk_add_f32 v[10:11], v[6:7], v[10:11] neg_lo:[0,1] neg_hi:[0,1]
	v_pk_fma_f32 v[22:23], v[22:23], 2.0, v[2:3] op_sel_hi:[1,0,1] neg_lo:[0,0,1] neg_hi:[0,0,1]
	v_pk_fma_f32 v[6:7], v[6:7], 2.0, v[10:11] op_sel_hi:[1,0,1] neg_lo:[0,0,1] neg_hi:[0,0,1]
	v_pk_add_f32 v[24:25], v[2:3], v[10:11] op_sel:[0,1] op_sel_hi:[1,0]
	v_pk_add_f32 v[10:11], v[2:3], v[10:11] op_sel:[0,1] op_sel_hi:[1,0] neg_lo:[0,1] neg_hi:[0,1]
	v_pk_add_f32 v[6:7], v[22:23], v[6:7] neg_lo:[0,1] neg_hi:[0,1]
	v_mov_b32_e32 v25, v11
	v_pk_fma_f32 v[22:23], v[22:23], 2.0, v[6:7] op_sel_hi:[1,0,1] neg_lo:[0,0,1] neg_hi:[0,0,1]
	v_pk_fma_f32 v[2:3], v[2:3], 2.0, v[24:25] op_sel_hi:[1,0,1] neg_lo:[0,0,1] neg_hi:[0,0,1]
	s_waitcnt lgkmcnt(0)
	; wave barrier
	s_waitcnt lgkmcnt(0)
	ds_write2_b64 v21, v[22:23], v[2:3] offset1:1
	ds_write2_b64 v21, v[6:7], v[24:25] offset0:2 offset1:3
	s_and_saveexec_b64 s[2:3], s[0:1]
	s_cbranch_execz .LBB0_15
; %bb.14:
	v_pk_add_f32 v[2:3], v[4:5], v[8:9] neg_lo:[0,1] neg_hi:[0,1]
	v_pk_add_f32 v[6:7], v[0:1], v[16:17] neg_lo:[0,1] neg_hi:[0,1]
	v_lshlrev_b32_e32 v8, 5, v20
	v_add3_u32 v10, 0, v8, v19
	v_pk_fma_f32 v[4:5], v[4:5], 2.0, v[2:3] op_sel_hi:[1,0,1] neg_lo:[0,0,1] neg_hi:[0,0,1]
	v_pk_fma_f32 v[0:1], v[0:1], 2.0, v[6:7] op_sel_hi:[1,0,1] neg_lo:[0,0,1] neg_hi:[0,0,1]
	v_pk_add_f32 v[8:9], v[2:3], v[6:7] op_sel:[0,1] op_sel_hi:[1,0]
	v_pk_add_f32 v[6:7], v[2:3], v[6:7] op_sel:[0,1] op_sel_hi:[1,0] neg_lo:[0,1] neg_hi:[0,1]
	v_pk_add_f32 v[0:1], v[4:5], v[0:1] neg_lo:[0,1] neg_hi:[0,1]
	v_mov_b32_e32 v9, v7
	v_pk_fma_f32 v[4:5], v[4:5], 2.0, v[0:1] op_sel_hi:[1,0,1] neg_lo:[0,0,1] neg_hi:[0,0,1]
	v_pk_fma_f32 v[2:3], v[2:3], 2.0, v[8:9] op_sel_hi:[1,0,1] neg_lo:[0,0,1] neg_hi:[0,0,1]
	ds_write2_b64 v10, v[4:5], v[2:3] offset1:1
	ds_write2_b64 v10, v[0:1], v[8:9] offset0:2 offset1:3
.LBB0_15:
	s_or_b64 exec, exec, s[2:3]
	v_and_b32_e32 v32, 3, v12
	v_mul_u32_u24_e32 v0, 6, v32
	v_lshlrev_b32_e32 v16, 3, v0
	s_waitcnt lgkmcnt(0)
	; wave barrier
	s_waitcnt lgkmcnt(0)
	global_load_dwordx4 v[0:3], v16, s[4:5] offset:16
	global_load_dwordx4 v[4:7], v16, s[4:5]
	global_load_dwordx4 v[8:11], v16, s[4:5] offset:32
	v_lshlrev_b32_e32 v28, 3, v20
	v_lshrrev_b32_e32 v29, 2, v12
	v_add3_u32 v54, 0, v28, v19
	ds_read_b64 v[16:17], v18
	ds_read2_b64 v[20:23], v13 offset0:56 offset1:84
	ds_read2_b64 v[24:27], v13 offset0:112 offset1:140
	v_mul_u32_u24_e32 v33, 28, v29
	ds_read_b64 v[28:29], v54
	ds_read_b64 v[30:31], v13 offset:1344
	v_or_b32_e32 v32, v33, v32
	v_lshlrev_b32_e32 v32, 3, v32
	v_add3_u32 v19, 0, v32, v19
	s_waitcnt lgkmcnt(3)
	v_mov_b32_e32 v32, v21
	s_waitcnt lgkmcnt(2)
	v_mov_b32_e32 v34, v27
	;; [unrolled: 2-line block ×4, first 2 shown]
	s_mov_b32 s6, 0x3f08b237
	s_mov_b32 s14, 0x3d64c772
	;; [unrolled: 1-line block ×10, first 2 shown]
	s_waitcnt lgkmcnt(0)
	; wave barrier
	s_mov_b32 s8, 0xbf5ff5aa
	s_mov_b32 s10, 0x3f3bfb3b
	s_waitcnt vmcnt(2)
	v_mul_f32_e32 v44, v3, v25
	v_mul_f32_e32 v3, v3, v24
	s_waitcnt vmcnt(1)
	v_pk_mul_f32 v[46:47], v[4:5], v[28:29] op_sel_hi:[1,0]
	v_pk_mul_f32 v[48:49], v[6:7], v[20:21] op_sel_hi:[1,0]
	s_waitcnt vmcnt(0)
	v_pk_mul_f32 v[50:51], v[8:9], v[26:27] op_sel_hi:[1,0]
	v_pk_mul_f32 v[52:53], v[10:11], v[30:31] op_sel_hi:[1,0]
	v_mul_f32_e32 v40, v0, v22
	v_mul_f32_e32 v42, v1, v23
	;; [unrolled: 1-line block ×4, first 2 shown]
	v_fma_f32 v2, v2, v25, -v3
	v_pk_fma_f32 v[24:25], v[4:5], v[36:37], v[46:47] op_sel:[0,0,1] op_sel_hi:[1,1,0] neg_lo:[0,0,1] neg_hi:[0,0,1]
	v_pk_fma_f32 v[4:5], v[4:5], v[28:29], v[46:47] op_sel:[0,1,1] op_sel_hi:[1,1,0]
	v_pk_fma_f32 v[28:29], v[6:7], v[32:33], v[48:49] op_sel:[0,0,1] op_sel_hi:[1,1,0] neg_lo:[0,0,1] neg_hi:[0,0,1]
	v_pk_fma_f32 v[6:7], v[6:7], v[20:21], v[48:49] op_sel:[0,1,1] op_sel_hi:[1,1,0]
	;; [unrolled: 2-line block ×4, first 2 shown]
	v_fma_f32 v0, v0, v23, -v1
	v_mov_b32_e32 v25, v5
	v_mov_b32_e32 v29, v7
	;; [unrolled: 1-line block ×8, first 2 shown]
	v_pk_add_f32 v[8:9], v[24:25], v[26:27]
	v_pk_add_f32 v[10:11], v[24:25], v[26:27] neg_lo:[0,1] neg_hi:[0,1]
	v_pk_add_f32 v[24:25], v[28:29], v[20:21]
	v_pk_add_f32 v[22:23], v[22:23], v[44:45]
	;; [unrolled: 1-line block ×3, first 2 shown]
	v_mov_b32_e32 v5, v0
	v_mov_b32_e32 v7, v2
	;; [unrolled: 1-line block ×6, first 2 shown]
	v_pk_add_f32 v[20:21], v[28:29], v[20:21] neg_lo:[0,1] neg_hi:[0,1]
	v_pk_add_f32 v[36:37], v[26:27], v[22:23]
	v_pk_add_f32 v[0:1], v[2:3], v[0:1] neg_lo:[0,1] neg_hi:[0,1]
	v_pk_add_f32 v[2:3], v[4:5], v[6:7]
	v_mov_b32_e32 v29, v11
	v_mov_b32_e32 v30, v20
	;; [unrolled: 1-line block ×11, first 2 shown]
	v_pk_add_f32 v[4:5], v[28:29], v[30:31] neg_lo:[0,1] neg_hi:[0,1]
	v_pk_add_f32 v[6:7], v[32:33], v[34:35] neg_lo:[0,1] neg_hi:[0,1]
	;; [unrolled: 1-line block ×3, first 2 shown]
	v_mov_b32_e32 v32, v9
	v_mov_b32_e32 v33, v3
	;; [unrolled: 1-line block ×3, first 2 shown]
	v_pk_add_f32 v[2:3], v[2:3], v[36:37]
	v_pk_add_f32 v[0:1], v[0:1], v[20:21]
	v_pk_mul_f32 v[4:5], v[4:5], s[6:7]
	v_pk_add_f32 v[32:33], v[32:33], v[26:27] neg_lo:[0,1] neg_hi:[0,1]
	v_pk_add_f32 v[16:17], v[2:3], v[16:17]
	v_pk_mul_f32 v[28:29], v[28:29], s[14:15]
	v_pk_add_f32 v[0:1], v[0:1], v[10:11]
	v_pk_mul_f32 v[30:31], v[6:7], s[2:3]
	v_pk_mul_f32 v[34:35], v[32:33], s[16:17]
	v_pk_fma_f32 v[2:3], v[2:3], s[12:13], v[16:17] op_sel_hi:[1,0,1] neg_lo:[1,0,0] neg_hi:[1,0,0]
	v_pk_fma_f32 v[32:33], v[32:33], s[16:17], v[28:29]
	v_pk_fma_f32 v[6:7], v[6:7], s[2:3], v[4:5]
	v_pk_add_f32 v[32:33], v[32:33], v[2:3]
	v_pk_fma_f32 v[6:7], v[0:1], s[0:1], v[6:7] op_sel_hi:[1,0,1]
	v_mov_b32_e32 v26, v25
	v_pk_add_f32 v[36:37], v[32:33], v[6:7]
	v_pk_add_f32 v[6:7], v[32:33], v[6:7] neg_lo:[0,1] neg_hi:[0,1]
	v_mov_b32_e32 v32, v36
	v_mov_b32_e32 v33, v7
	;; [unrolled: 1-line block ×3, first 2 shown]
	ds_write2_b64 v19, v[16:17], v[32:33] offset1:4
	v_pk_add_f32 v[10:11], v[20:21], v[10:11] neg_lo:[0,1] neg_hi:[0,1]
	v_pk_add_f32 v[8:9], v[26:27], v[22:23] neg_lo:[0,1] neg_hi:[0,1]
	v_mov_b32_e32 v16, v34
	v_mov_b32_e32 v17, v29
	;; [unrolled: 1-line block ×6, first 2 shown]
	v_pk_fma_f32 v[16:17], v[8:9], s[10:11], v[16:17] op_sel_hi:[1,0,1] neg_lo:[1,0,1] neg_hi:[1,0,1]
	v_pk_fma_f32 v[20:21], v[10:11], s[8:9], v[20:21] op_sel_hi:[1,0,1] neg_lo:[1,0,1] neg_hi:[1,0,1]
	;; [unrolled: 1-line block ×4, first 2 shown]
	v_pk_add_f32 v[16:17], v[16:17], v[2:3]
	v_pk_fma_f32 v[20:21], v[0:1], s[0:1], v[20:21] op_sel_hi:[1,0,1]
	v_pk_add_f32 v[2:3], v[8:9], v[2:3]
	v_pk_fma_f32 v[0:1], v[0:1], s[0:1], v[4:5] op_sel_hi:[1,0,1]
	v_pk_add_f32 v[22:23], v[16:17], v[20:21]
	v_pk_add_f32 v[16:17], v[16:17], v[20:21] neg_lo:[0,1] neg_hi:[0,1]
	v_pk_add_f32 v[4:5], v[2:3], v[0:1] neg_lo:[0,1] neg_hi:[0,1]
	v_pk_add_f32 v[0:1], v[2:3], v[0:1]
	v_mov_b32_e32 v21, v17
	v_mov_b32_e32 v3, v1
	;; [unrolled: 1-line block ×4, first 2 shown]
	ds_write2_b64 v19, v[0:1], v[16:17] offset0:16 offset1:20
	v_mul_u32_u24_e32 v0, 6, v12
	v_mov_b32_e32 v20, v22
	v_mov_b32_e32 v2, v4
	;; [unrolled: 1-line block ×3, first 2 shown]
	v_lshlrev_b32_e32 v16, 3, v0
	ds_write2_b64 v19, v[20:21], v[2:3] offset0:8 offset1:12
	ds_write_b64 v19, v[6:7] offset:192
	s_waitcnt lgkmcnt(0)
	; wave barrier
	s_waitcnt lgkmcnt(0)
	global_load_dwordx4 v[0:3], v16, s[4:5] offset:208
	global_load_dwordx4 v[4:7], v16, s[4:5] offset:192
	;; [unrolled: 1-line block ×3, first 2 shown]
	ds_read_b64 v[16:17], v54
	ds_read2_b64 v[20:23], v13 offset0:56 offset1:84
	ds_read2_b64 v[24:27], v13 offset0:112 offset1:140
	ds_read_b64 v[28:29], v18
	ds_read_b64 v[30:31], v13 offset:1344
	s_waitcnt lgkmcnt(4)
	v_mov_b32_e32 v32, v17
	s_waitcnt lgkmcnt(3)
	v_mov_b32_e32 v34, v21
	;; [unrolled: 2-line block ×3, first 2 shown]
	s_waitcnt lgkmcnt(0)
	; wave barrier
	s_waitcnt vmcnt(2) lgkmcnt(0)
	v_mul_f32_e32 v42, v3, v25
	v_mul_f32_e32 v3, v3, v24
	s_waitcnt vmcnt(1)
	v_pk_mul_f32 v[44:45], v[4:5], v[16:17] op_sel_hi:[1,0]
	v_mul_f32_e32 v38, v0, v22
	v_mul_f32_e32 v40, v1, v23
	;; [unrolled: 1-line block ×4, first 2 shown]
	v_pk_mul_f32 v[46:47], v[6:7], v[20:21] op_sel_hi:[1,0]
	v_fma_f32 v2, v2, v25, -v3
	v_pk_fma_f32 v[24:25], v[4:5], v[32:33], v[44:45] op_sel:[0,0,1] op_sel_hi:[1,1,0] neg_lo:[0,0,1] neg_hi:[0,0,1]
	v_pk_fma_f32 v[4:5], v[4:5], v[16:17], v[44:45] op_sel:[0,1,1] op_sel_hi:[1,1,0]
	v_pk_fma_f32 v[16:17], v[6:7], v[34:35], v[46:47] op_sel:[0,0,1] op_sel_hi:[1,1,0] neg_lo:[0,0,1] neg_hi:[0,0,1]
	v_pk_fma_f32 v[6:7], v[6:7], v[20:21], v[46:47] op_sel:[0,1,1] op_sel_hi:[1,1,0]
	v_mov_b32_e32 v25, v5
	s_waitcnt vmcnt(0)
	v_pk_mul_f32 v[4:5], v[8:9], v[26:27] op_sel_hi:[1,0]
	v_mov_b32_e32 v17, v7
	v_pk_fma_f32 v[6:7], v[8:9], v[36:37], v[4:5] op_sel:[0,0,1] op_sel_hi:[1,1,0] neg_lo:[0,0,1] neg_hi:[0,0,1]
	v_pk_fma_f32 v[4:5], v[8:9], v[26:27], v[4:5] op_sel:[0,1,1] op_sel_hi:[1,1,0]
	v_pk_mul_f32 v[8:9], v[10:11], v[30:31] op_sel_hi:[1,0]
	v_mov_b32_e32 v4, v31
	v_mov_b32_e32 v7, v5
	v_pk_fma_f32 v[4:5], v[10:11], v[4:5], v[8:9] op_sel:[0,0,1] op_sel_hi:[1,1,0] neg_lo:[0,0,1] neg_hi:[0,0,1]
	v_pk_fma_f32 v[8:9], v[10:11], v[30:31], v[8:9] op_sel:[0,1,1] op_sel_hi:[1,1,0]
	v_fma_f32 v0, v0, v23, -v1
	v_mov_b32_e32 v5, v9
	v_mov_b32_e32 v23, v24
	;; [unrolled: 1-line block ×5, first 2 shown]
	v_pk_add_f32 v[8:9], v[24:25], v[4:5]
	v_pk_add_f32 v[10:11], v[24:25], v[4:5] neg_lo:[0,1] neg_hi:[0,1]
	v_pk_add_f32 v[20:21], v[16:17], v[6:7]
	v_pk_add_f32 v[26:27], v[16:17], v[6:7] neg_lo:[0,1] neg_hi:[0,1]
	v_pk_add_f32 v[4:5], v[22:23], v[42:43]
	v_pk_add_f32 v[6:7], v[38:39], v[40:41]
	v_mov_b32_e32 v3, v4
	v_mov_b32_e32 v1, v6
	v_pk_add_f32 v[16:17], v[2:3], v[0:1] neg_lo:[0,1] neg_hi:[0,1]
	v_mov_b32_e32 v32, v21
	v_mov_b32_e32 v33, v0
	;; [unrolled: 1-line block ×4, first 2 shown]
	v_pk_add_f32 v[0:1], v[32:33], v[0:1]
	v_pk_add_f32 v[2:3], v[6:7], v[4:5]
	v_mov_b32_e32 v22, v16
	v_mov_b32_e32 v23, v11
	;; [unrolled: 1-line block ×6, first 2 shown]
	v_pk_add_f32 v[22:23], v[22:23], v[24:25] neg_lo:[0,1] neg_hi:[0,1]
	v_mov_b32_e32 v24, v10
	v_mov_b32_e32 v30, v16
	;; [unrolled: 1-line block ×3, first 2 shown]
	v_pk_add_f32 v[32:33], v[4:5], v[32:33] neg_lo:[0,1] neg_hi:[0,1]
	v_mov_b32_e32 v34, v9
	v_mov_b32_e32 v35, v1
	;; [unrolled: 1-line block ×3, first 2 shown]
	v_pk_add_f32 v[0:1], v[0:1], v[2:3]
	v_pk_mul_f32 v[22:23], v[22:23], s[6:7]
	v_pk_add_f32 v[24:25], v[24:25], v[30:31] neg_lo:[0,1] neg_hi:[0,1]
	v_pk_add_f32 v[16:17], v[16:17], v[26:27]
	v_pk_add_f32 v[34:35], v[34:35], v[6:7] neg_lo:[0,1] neg_hi:[0,1]
	v_pk_add_f32 v[2:3], v[0:1], v[28:29]
	v_pk_mul_f32 v[28:29], v[32:33], s[14:15]
	v_pk_mul_f32 v[30:31], v[24:25], s[2:3]
	v_pk_add_f32 v[16:17], v[16:17], v[10:11]
	v_pk_mul_f32 v[32:33], v[34:35], s[16:17]
	v_pk_fma_f32 v[0:1], v[0:1], s[12:13], v[2:3] op_sel_hi:[1,0,1] neg_lo:[1,0,0] neg_hi:[1,0,0]
	v_pk_fma_f32 v[34:35], v[34:35], s[16:17], v[28:29]
	v_pk_fma_f32 v[24:25], v[24:25], s[2:3], v[22:23]
	v_pk_add_f32 v[34:35], v[34:35], v[0:1]
	v_pk_fma_f32 v[24:25], v[16:17], s[0:1], v[24:25] op_sel_hi:[1,0,1]
	v_mov_b32_e32 v6, v21
	v_pk_add_f32 v[36:37], v[34:35], v[24:25]
	v_pk_add_f32 v[24:25], v[34:35], v[24:25] neg_lo:[0,1] neg_hi:[0,1]
	v_mov_b32_e32 v34, v36
	v_mov_b32_e32 v35, v25
	;; [unrolled: 1-line block ×3, first 2 shown]
	ds_write2_b64 v13, v[2:3], v[34:35] offset1:28
	v_pk_add_f32 v[2:3], v[26:27], v[10:11] neg_lo:[0,1] neg_hi:[0,1]
	v_pk_add_f32 v[4:5], v[6:7], v[4:5] neg_lo:[0,1] neg_hi:[0,1]
	v_mov_b32_e32 v6, v32
	v_mov_b32_e32 v7, v29
	;; [unrolled: 1-line block ×6, first 2 shown]
	v_pk_fma_f32 v[6:7], v[4:5], s[10:11], v[6:7] op_sel_hi:[1,0,1] neg_lo:[1,0,1] neg_hi:[1,0,1]
	v_pk_fma_f32 v[8:9], v[2:3], s[8:9], v[8:9] op_sel_hi:[1,0,1] neg_lo:[1,0,1] neg_hi:[1,0,1]
	;; [unrolled: 1-line block ×4, first 2 shown]
	v_pk_add_f32 v[6:7], v[6:7], v[0:1]
	v_pk_fma_f32 v[8:9], v[16:17], s[0:1], v[8:9] op_sel_hi:[1,0,1]
	v_pk_add_f32 v[0:1], v[4:5], v[0:1]
	v_pk_fma_f32 v[2:3], v[16:17], s[0:1], v[2:3] op_sel_hi:[1,0,1]
	v_pk_add_f32 v[10:11], v[6:7], v[8:9]
	v_pk_add_f32 v[6:7], v[6:7], v[8:9] neg_lo:[0,1] neg_hi:[0,1]
	v_pk_add_f32 v[4:5], v[0:1], v[2:3] neg_lo:[0,1] neg_hi:[0,1]
	v_pk_add_f32 v[0:1], v[0:1], v[2:3]
	v_mov_b32_e32 v8, v10
	v_mov_b32_e32 v9, v7
	;; [unrolled: 1-line block ×7, first 2 shown]
	ds_write2_b64 v13, v[8:9], v[2:3] offset0:56 offset1:84
	ds_write2_b64 v13, v[0:1], v[6:7] offset0:112 offset1:140
	ds_write_b64 v13, v[24:25] offset:1344
	s_waitcnt lgkmcnt(0)
	; wave barrier
	s_waitcnt lgkmcnt(0)
	s_and_saveexec_b64 s[0:1], vcc
	s_cbranch_execz .LBB0_17
; %bb.16:
	ds_read2_b64 v[0:3], v18 offset1:28
	ds_read2_b64 v[4:7], v18 offset0:56 offset1:84
	ds_read2_b64 v[8:11], v18 offset0:112 offset1:140
	v_mov_b32_e32 v13, 0
	v_lshl_add_u64 v[12:13], v[12:13], 3, v[14:15]
	s_waitcnt lgkmcnt(2)
	global_store_dwordx2 v[12:13], v[0:1], off
	global_store_dwordx2 v[12:13], v[2:3], off offset:224
	ds_read_b64 v[0:1], v18 offset:1344
	s_waitcnt lgkmcnt(2)
	global_store_dwordx2 v[12:13], v[4:5], off offset:448
	global_store_dwordx2 v[12:13], v[6:7], off offset:672
	s_waitcnt lgkmcnt(1)
	global_store_dwordx2 v[12:13], v[8:9], off offset:896
	global_store_dwordx2 v[12:13], v[10:11], off offset:1120
	s_waitcnt lgkmcnt(0)
	global_store_dwordx2 v[12:13], v[0:1], off offset:1344
.LBB0_17:
	s_endpgm
	.section	.rodata,"a",@progbits
	.p2align	6, 0x0
	.amdhsa_kernel fft_rtc_back_len196_factors_4_7_7_wgs_56_tpt_28_sp_ip_CI_unitstride_sbrr_dirReg
		.amdhsa_group_segment_fixed_size 0
		.amdhsa_private_segment_fixed_size 0
		.amdhsa_kernarg_size 88
		.amdhsa_user_sgpr_count 2
		.amdhsa_user_sgpr_dispatch_ptr 0
		.amdhsa_user_sgpr_queue_ptr 0
		.amdhsa_user_sgpr_kernarg_segment_ptr 1
		.amdhsa_user_sgpr_dispatch_id 0
		.amdhsa_user_sgpr_kernarg_preload_length 0
		.amdhsa_user_sgpr_kernarg_preload_offset 0
		.amdhsa_user_sgpr_private_segment_size 0
		.amdhsa_uses_dynamic_stack 0
		.amdhsa_enable_private_segment 0
		.amdhsa_system_sgpr_workgroup_id_x 1
		.amdhsa_system_sgpr_workgroup_id_y 0
		.amdhsa_system_sgpr_workgroup_id_z 0
		.amdhsa_system_sgpr_workgroup_info 0
		.amdhsa_system_vgpr_workitem_id 0
		.amdhsa_next_free_vgpr 55
		.amdhsa_next_free_sgpr 22
		.amdhsa_accum_offset 56
		.amdhsa_reserve_vcc 1
		.amdhsa_float_round_mode_32 0
		.amdhsa_float_round_mode_16_64 0
		.amdhsa_float_denorm_mode_32 3
		.amdhsa_float_denorm_mode_16_64 3
		.amdhsa_dx10_clamp 1
		.amdhsa_ieee_mode 1
		.amdhsa_fp16_overflow 0
		.amdhsa_tg_split 0
		.amdhsa_exception_fp_ieee_invalid_op 0
		.amdhsa_exception_fp_denorm_src 0
		.amdhsa_exception_fp_ieee_div_zero 0
		.amdhsa_exception_fp_ieee_overflow 0
		.amdhsa_exception_fp_ieee_underflow 0
		.amdhsa_exception_fp_ieee_inexact 0
		.amdhsa_exception_int_div_zero 0
	.end_amdhsa_kernel
	.text
.Lfunc_end0:
	.size	fft_rtc_back_len196_factors_4_7_7_wgs_56_tpt_28_sp_ip_CI_unitstride_sbrr_dirReg, .Lfunc_end0-fft_rtc_back_len196_factors_4_7_7_wgs_56_tpt_28_sp_ip_CI_unitstride_sbrr_dirReg
                                        ; -- End function
	.section	.AMDGPU.csdata,"",@progbits
; Kernel info:
; codeLenInByte = 3564
; NumSgprs: 28
; NumVgprs: 55
; NumAgprs: 0
; TotalNumVgprs: 55
; ScratchSize: 0
; MemoryBound: 0
; FloatMode: 240
; IeeeMode: 1
; LDSByteSize: 0 bytes/workgroup (compile time only)
; SGPRBlocks: 3
; VGPRBlocks: 6
; NumSGPRsForWavesPerEU: 28
; NumVGPRsForWavesPerEU: 55
; AccumOffset: 56
; Occupancy: 8
; WaveLimiterHint : 1
; COMPUTE_PGM_RSRC2:SCRATCH_EN: 0
; COMPUTE_PGM_RSRC2:USER_SGPR: 2
; COMPUTE_PGM_RSRC2:TRAP_HANDLER: 0
; COMPUTE_PGM_RSRC2:TGID_X_EN: 1
; COMPUTE_PGM_RSRC2:TGID_Y_EN: 0
; COMPUTE_PGM_RSRC2:TGID_Z_EN: 0
; COMPUTE_PGM_RSRC2:TIDIG_COMP_CNT: 0
; COMPUTE_PGM_RSRC3_GFX90A:ACCUM_OFFSET: 13
; COMPUTE_PGM_RSRC3_GFX90A:TG_SPLIT: 0
	.text
	.p2alignl 6, 3212836864
	.fill 256, 4, 3212836864
	.type	__hip_cuid_1231af4b02757d95,@object ; @__hip_cuid_1231af4b02757d95
	.section	.bss,"aw",@nobits
	.globl	__hip_cuid_1231af4b02757d95
__hip_cuid_1231af4b02757d95:
	.byte	0                               ; 0x0
	.size	__hip_cuid_1231af4b02757d95, 1

	.ident	"AMD clang version 19.0.0git (https://github.com/RadeonOpenCompute/llvm-project roc-6.4.0 25133 c7fe45cf4b819c5991fe208aaa96edf142730f1d)"
	.section	".note.GNU-stack","",@progbits
	.addrsig
	.addrsig_sym __hip_cuid_1231af4b02757d95
	.amdgpu_metadata
---
amdhsa.kernels:
  - .agpr_count:     0
    .args:
      - .actual_access:  read_only
        .address_space:  global
        .offset:         0
        .size:           8
        .value_kind:     global_buffer
      - .offset:         8
        .size:           8
        .value_kind:     by_value
      - .actual_access:  read_only
        .address_space:  global
        .offset:         16
        .size:           8
        .value_kind:     global_buffer
      - .actual_access:  read_only
        .address_space:  global
        .offset:         24
        .size:           8
        .value_kind:     global_buffer
      - .offset:         32
        .size:           8
        .value_kind:     by_value
      - .actual_access:  read_only
        .address_space:  global
        .offset:         40
        .size:           8
        .value_kind:     global_buffer
      - .actual_access:  read_only
        .address_space:  global
        .offset:         48
        .size:           8
        .value_kind:     global_buffer
      - .offset:         56
        .size:           4
        .value_kind:     by_value
      - .actual_access:  read_only
        .address_space:  global
        .offset:         64
        .size:           8
        .value_kind:     global_buffer
      - .actual_access:  read_only
        .address_space:  global
        .offset:         72
        .size:           8
        .value_kind:     global_buffer
      - .address_space:  global
        .offset:         80
        .size:           8
        .value_kind:     global_buffer
    .group_segment_fixed_size: 0
    .kernarg_segment_align: 8
    .kernarg_segment_size: 88
    .language:       OpenCL C
    .language_version:
      - 2
      - 0
    .max_flat_workgroup_size: 56
    .name:           fft_rtc_back_len196_factors_4_7_7_wgs_56_tpt_28_sp_ip_CI_unitstride_sbrr_dirReg
    .private_segment_fixed_size: 0
    .sgpr_count:     28
    .sgpr_spill_count: 0
    .symbol:         fft_rtc_back_len196_factors_4_7_7_wgs_56_tpt_28_sp_ip_CI_unitstride_sbrr_dirReg.kd
    .uniform_work_group_size: 1
    .uses_dynamic_stack: false
    .vgpr_count:     55
    .vgpr_spill_count: 0
    .wavefront_size: 64
amdhsa.target:   amdgcn-amd-amdhsa--gfx950
amdhsa.version:
  - 1
  - 2
...

	.end_amdgpu_metadata
